;; amdgpu-corpus repo=ROCm/rocFFT kind=compiled arch=gfx906 opt=O3
	.text
	.amdgcn_target "amdgcn-amd-amdhsa--gfx906"
	.amdhsa_code_object_version 6
	.protected	fft_rtc_fwd_len260_factors_13_10_2_wgs_52_tpt_26_half_ip_CI_sbrr_dirReg ; -- Begin function fft_rtc_fwd_len260_factors_13_10_2_wgs_52_tpt_26_half_ip_CI_sbrr_dirReg
	.globl	fft_rtc_fwd_len260_factors_13_10_2_wgs_52_tpt_26_half_ip_CI_sbrr_dirReg
	.p2align	8
	.type	fft_rtc_fwd_len260_factors_13_10_2_wgs_52_tpt_26_half_ip_CI_sbrr_dirReg,@function
fft_rtc_fwd_len260_factors_13_10_2_wgs_52_tpt_26_half_ip_CI_sbrr_dirReg: ; @fft_rtc_fwd_len260_factors_13_10_2_wgs_52_tpt_26_half_ip_CI_sbrr_dirReg
; %bb.0:
	s_load_dwordx2 s[2:3], s[4:5], 0x18
	s_load_dwordx4 s[8:11], s[4:5], 0x0
	s_load_dwordx2 s[14:15], s[4:5], 0x50
	v_mul_u32_u24_e32 v1, 0x9d9, v0
	v_lshrrev_b32_e32 v9, 16, v1
	s_waitcnt lgkmcnt(0)
	s_load_dwordx2 s[12:13], s[2:3], 0x0
	v_cmp_lt_u64_e64 s[0:1], s[10:11], 2
	v_mov_b32_e32 v3, 0
	v_mov_b32_e32 v1, 0
	v_lshl_add_u32 v5, s6, 1, v9
	v_mov_b32_e32 v6, v3
	s_and_b64 vcc, exec, s[0:1]
	v_mov_b32_e32 v2, 0
	s_cbranch_vccnz .LBB0_8
; %bb.1:
	s_load_dwordx2 s[0:1], s[4:5], 0x10
	s_add_u32 s6, s2, 8
	s_addc_u32 s7, s3, 0
	v_mov_b32_e32 v1, 0
	v_mov_b32_e32 v2, 0
	s_waitcnt lgkmcnt(0)
	s_add_u32 s16, s0, 8
	s_addc_u32 s17, s1, 0
	s_mov_b64 s[18:19], 1
.LBB0_2:                                ; =>This Inner Loop Header: Depth=1
	s_load_dwordx2 s[20:21], s[16:17], 0x0
                                        ; implicit-def: $vgpr7_vgpr8
	s_waitcnt lgkmcnt(0)
	v_or_b32_e32 v4, s21, v6
	v_cmp_ne_u64_e32 vcc, 0, v[3:4]
	s_and_saveexec_b64 s[0:1], vcc
	s_xor_b64 s[22:23], exec, s[0:1]
	s_cbranch_execz .LBB0_4
; %bb.3:                                ;   in Loop: Header=BB0_2 Depth=1
	v_cvt_f32_u32_e32 v4, s20
	v_cvt_f32_u32_e32 v7, s21
	s_sub_u32 s0, 0, s20
	s_subb_u32 s1, 0, s21
	v_mac_f32_e32 v4, 0x4f800000, v7
	v_rcp_f32_e32 v4, v4
	v_mul_f32_e32 v4, 0x5f7ffffc, v4
	v_mul_f32_e32 v7, 0x2f800000, v4
	v_trunc_f32_e32 v7, v7
	v_mac_f32_e32 v4, 0xcf800000, v7
	v_cvt_u32_f32_e32 v7, v7
	v_cvt_u32_f32_e32 v4, v4
	v_mul_lo_u32 v8, s0, v7
	v_mul_hi_u32 v10, s0, v4
	v_mul_lo_u32 v12, s1, v4
	v_mul_lo_u32 v11, s0, v4
	v_add_u32_e32 v8, v10, v8
	v_add_u32_e32 v8, v8, v12
	v_mul_hi_u32 v10, v4, v11
	v_mul_lo_u32 v12, v4, v8
	v_mul_hi_u32 v14, v4, v8
	v_mul_hi_u32 v13, v7, v11
	v_mul_lo_u32 v11, v7, v11
	v_mul_hi_u32 v15, v7, v8
	v_add_co_u32_e32 v10, vcc, v10, v12
	v_addc_co_u32_e32 v12, vcc, 0, v14, vcc
	v_mul_lo_u32 v8, v7, v8
	v_add_co_u32_e32 v10, vcc, v10, v11
	v_addc_co_u32_e32 v10, vcc, v12, v13, vcc
	v_addc_co_u32_e32 v11, vcc, 0, v15, vcc
	v_add_co_u32_e32 v8, vcc, v10, v8
	v_addc_co_u32_e32 v10, vcc, 0, v11, vcc
	v_add_co_u32_e32 v4, vcc, v4, v8
	v_addc_co_u32_e32 v7, vcc, v7, v10, vcc
	v_mul_lo_u32 v8, s0, v7
	v_mul_hi_u32 v10, s0, v4
	v_mul_lo_u32 v11, s1, v4
	v_mul_lo_u32 v12, s0, v4
	v_add_u32_e32 v8, v10, v8
	v_add_u32_e32 v8, v8, v11
	v_mul_lo_u32 v13, v4, v8
	v_mul_hi_u32 v14, v4, v12
	v_mul_hi_u32 v15, v4, v8
	v_mul_hi_u32 v11, v7, v12
	v_mul_lo_u32 v12, v7, v12
	v_mul_hi_u32 v10, v7, v8
	v_add_co_u32_e32 v13, vcc, v14, v13
	v_addc_co_u32_e32 v14, vcc, 0, v15, vcc
	v_mul_lo_u32 v8, v7, v8
	v_add_co_u32_e32 v12, vcc, v13, v12
	v_addc_co_u32_e32 v11, vcc, v14, v11, vcc
	v_addc_co_u32_e32 v10, vcc, 0, v10, vcc
	v_add_co_u32_e32 v8, vcc, v11, v8
	v_addc_co_u32_e32 v10, vcc, 0, v10, vcc
	v_add_co_u32_e32 v4, vcc, v4, v8
	v_addc_co_u32_e32 v10, vcc, v7, v10, vcc
	v_mad_u64_u32 v[7:8], s[0:1], v5, v10, 0
	v_mul_hi_u32 v11, v5, v4
	v_add_co_u32_e32 v12, vcc, v11, v7
	v_addc_co_u32_e32 v13, vcc, 0, v8, vcc
	v_mad_u64_u32 v[7:8], s[0:1], v6, v4, 0
	v_mad_u64_u32 v[10:11], s[0:1], v6, v10, 0
	v_add_co_u32_e32 v4, vcc, v12, v7
	v_addc_co_u32_e32 v4, vcc, v13, v8, vcc
	v_addc_co_u32_e32 v7, vcc, 0, v11, vcc
	v_add_co_u32_e32 v4, vcc, v4, v10
	v_addc_co_u32_e32 v10, vcc, 0, v7, vcc
	v_mul_lo_u32 v11, s21, v4
	v_mul_lo_u32 v12, s20, v10
	v_mad_u64_u32 v[7:8], s[0:1], s20, v4, 0
	v_add3_u32 v8, v8, v12, v11
	v_sub_u32_e32 v11, v6, v8
	v_mov_b32_e32 v12, s21
	v_sub_co_u32_e32 v7, vcc, v5, v7
	v_subb_co_u32_e64 v11, s[0:1], v11, v12, vcc
	v_subrev_co_u32_e64 v12, s[0:1], s20, v7
	v_subbrev_co_u32_e64 v11, s[0:1], 0, v11, s[0:1]
	v_cmp_le_u32_e64 s[0:1], s21, v11
	v_cndmask_b32_e64 v13, 0, -1, s[0:1]
	v_cmp_le_u32_e64 s[0:1], s20, v12
	v_cndmask_b32_e64 v12, 0, -1, s[0:1]
	v_cmp_eq_u32_e64 s[0:1], s21, v11
	v_cndmask_b32_e64 v11, v13, v12, s[0:1]
	v_add_co_u32_e64 v12, s[0:1], 2, v4
	v_addc_co_u32_e64 v13, s[0:1], 0, v10, s[0:1]
	v_add_co_u32_e64 v14, s[0:1], 1, v4
	v_addc_co_u32_e64 v15, s[0:1], 0, v10, s[0:1]
	v_subb_co_u32_e32 v8, vcc, v6, v8, vcc
	v_cmp_ne_u32_e64 s[0:1], 0, v11
	v_cmp_le_u32_e32 vcc, s21, v8
	v_cndmask_b32_e64 v11, v15, v13, s[0:1]
	v_cndmask_b32_e64 v13, 0, -1, vcc
	v_cmp_le_u32_e32 vcc, s20, v7
	v_cndmask_b32_e64 v7, 0, -1, vcc
	v_cmp_eq_u32_e32 vcc, s21, v8
	v_cndmask_b32_e32 v7, v13, v7, vcc
	v_cmp_ne_u32_e32 vcc, 0, v7
	v_cndmask_b32_e64 v7, v14, v12, s[0:1]
	v_cndmask_b32_e32 v8, v10, v11, vcc
	v_cndmask_b32_e32 v7, v4, v7, vcc
.LBB0_4:                                ;   in Loop: Header=BB0_2 Depth=1
	s_andn2_saveexec_b64 s[0:1], s[22:23]
	s_cbranch_execz .LBB0_6
; %bb.5:                                ;   in Loop: Header=BB0_2 Depth=1
	v_cvt_f32_u32_e32 v4, s20
	s_sub_i32 s22, 0, s20
	v_rcp_iflag_f32_e32 v4, v4
	v_mul_f32_e32 v4, 0x4f7ffffe, v4
	v_cvt_u32_f32_e32 v4, v4
	v_mul_lo_u32 v7, s22, v4
	v_mul_hi_u32 v7, v4, v7
	v_add_u32_e32 v4, v4, v7
	v_mul_hi_u32 v4, v5, v4
	v_mul_lo_u32 v7, v4, s20
	v_add_u32_e32 v8, 1, v4
	v_sub_u32_e32 v7, v5, v7
	v_subrev_u32_e32 v10, s20, v7
	v_cmp_le_u32_e32 vcc, s20, v7
	v_cndmask_b32_e32 v7, v7, v10, vcc
	v_cndmask_b32_e32 v4, v4, v8, vcc
	v_add_u32_e32 v8, 1, v4
	v_cmp_le_u32_e32 vcc, s20, v7
	v_cndmask_b32_e32 v7, v4, v8, vcc
	v_mov_b32_e32 v8, v3
.LBB0_6:                                ;   in Loop: Header=BB0_2 Depth=1
	s_or_b64 exec, exec, s[0:1]
	v_mul_lo_u32 v4, v8, s20
	v_mul_lo_u32 v12, v7, s21
	v_mad_u64_u32 v[10:11], s[0:1], v7, s20, 0
	s_load_dwordx2 s[0:1], s[6:7], 0x0
	s_add_u32 s18, s18, 1
	v_add3_u32 v4, v11, v12, v4
	v_sub_co_u32_e32 v5, vcc, v5, v10
	v_subb_co_u32_e32 v4, vcc, v6, v4, vcc
	s_waitcnt lgkmcnt(0)
	v_mul_lo_u32 v4, s0, v4
	v_mul_lo_u32 v6, s1, v5
	v_mad_u64_u32 v[1:2], s[0:1], s0, v5, v[1:2]
	s_addc_u32 s19, s19, 0
	s_add_u32 s6, s6, 8
	v_add3_u32 v2, v6, v2, v4
	v_mov_b32_e32 v4, s10
	v_mov_b32_e32 v5, s11
	s_addc_u32 s7, s7, 0
	v_cmp_ge_u64_e32 vcc, s[18:19], v[4:5]
	s_add_u32 s16, s16, 8
	s_addc_u32 s17, s17, 0
	s_cbranch_vccnz .LBB0_9
; %bb.7:                                ;   in Loop: Header=BB0_2 Depth=1
	v_mov_b32_e32 v5, v7
	v_mov_b32_e32 v6, v8
	s_branch .LBB0_2
.LBB0_8:
	v_mov_b32_e32 v8, v6
	v_mov_b32_e32 v7, v5
.LBB0_9:
	s_lshl_b64 s[0:1], s[10:11], 3
	s_add_u32 s0, s2, s0
	s_addc_u32 s1, s3, s1
	s_load_dwordx2 s[2:3], s[0:1], 0x0
	s_load_dwordx2 s[6:7], s[4:5], 0x20
	v_mov_b32_e32 v18, 0
                                        ; implicit-def: $vgpr19
                                        ; implicit-def: $vgpr20
                                        ; implicit-def: $vgpr6
                                        ; implicit-def: $vgpr21
                                        ; implicit-def: $vgpr22
                                        ; implicit-def: $vgpr23
                                        ; implicit-def: $vgpr10
                                        ; implicit-def: $vgpr24
                                        ; implicit-def: $vgpr11
                                        ; implicit-def: $vgpr25
                                        ; implicit-def: $vgpr12
                                        ; implicit-def: $vgpr26
                                        ; implicit-def: $vgpr13
                                        ; implicit-def: $vgpr27
                                        ; implicit-def: $vgpr14
                                        ; implicit-def: $vgpr28
                                        ; implicit-def: $vgpr15
                                        ; implicit-def: $vgpr29
                                        ; implicit-def: $vgpr16
                                        ; implicit-def: $vgpr30
                                        ; implicit-def: $vgpr17
	s_waitcnt lgkmcnt(0)
	v_mad_u64_u32 v[1:2], s[0:1], s2, v7, v[1:2]
	s_mov_b32 s0, 0x9d89d8a
	v_mul_lo_u32 v3, s2, v8
	v_mul_lo_u32 v4, s3, v7
	v_mul_hi_u32 v5, v0, s0
	v_cmp_gt_u64_e32 vcc, s[6:7], v[7:8]
                                        ; implicit-def: $vgpr7
                                        ; implicit-def: $vgpr8
	v_add3_u32 v2, v4, v2, v3
	v_mul_u32_u24_e32 v3, 26, v5
	v_sub_u32_e32 v0, v0, v3
	v_cmp_gt_u32_e64 s[0:1], 20, v0
	v_lshlrev_b64 v[2:3], 2, v[1:2]
	s_and_b64 s[2:3], vcc, s[0:1]
	v_mov_b32_e32 v4, 0
                                        ; implicit-def: $vgpr5
	s_and_saveexec_b64 s[4:5], s[2:3]
	s_cbranch_execz .LBB0_11
; %bb.10:
	v_mad_u64_u32 v[4:5], s[2:3], s12, v0, 0
	v_add_u32_e32 v10, 20, v0
	v_mov_b32_e32 v8, s15
	v_mov_b32_e32 v1, v5
	v_mad_u64_u32 v[5:6], s[2:3], s13, v0, v[1:2]
	v_mad_u64_u32 v[6:7], s[2:3], s12, v10, 0
	v_add_co_u32_e64 v40, s[2:3], s14, v2
	v_mov_b32_e32 v1, v7
	v_addc_co_u32_e64 v41, s[2:3], v8, v3, s[2:3]
	v_mad_u64_u32 v[7:8], s[2:3], s13, v10, v[1:2]
	v_add_u32_e32 v8, 40, v0
	v_mad_u64_u32 v[10:11], s[2:3], s12, v8, 0
	v_lshlrev_b64 v[4:5], 2, v[4:5]
	v_add_u32_e32 v12, 60, v0
	v_add_co_u32_e64 v13, s[2:3], v40, v4
	v_mov_b32_e32 v1, v11
	v_addc_co_u32_e64 v14, s[2:3], v41, v5, s[2:3]
	v_lshlrev_b64 v[4:5], 2, v[6:7]
	v_mad_u64_u32 v[6:7], s[2:3], s13, v8, v[1:2]
	v_mad_u64_u32 v[7:8], s[2:3], s12, v12, 0
	v_add_co_u32_e64 v15, s[2:3], v40, v4
	v_mov_b32_e32 v11, v6
	v_mov_b32_e32 v1, v8
	v_addc_co_u32_e64 v16, s[2:3], v41, v5, s[2:3]
	v_lshlrev_b64 v[4:5], 2, v[10:11]
	v_mad_u64_u32 v[10:11], s[2:3], s13, v12, v[1:2]
	v_add_u32_e32 v6, 0x50, v0
	v_mad_u64_u32 v[11:12], s[2:3], s12, v6, 0
	v_add_co_u32_e64 v17, s[2:3], v40, v4
	v_mov_b32_e32 v8, v10
	v_mov_b32_e32 v1, v12
	v_addc_co_u32_e64 v18, s[2:3], v41, v5, s[2:3]
	v_lshlrev_b64 v[4:5], 2, v[7:8]
	v_mad_u64_u32 v[6:7], s[2:3], s13, v6, v[1:2]
	v_add_u32_e32 v10, 0x64, v0
	;; [unrolled: 8-line block ×4, first 2 shown]
	v_mad_u64_u32 v[7:8], s[2:3], s12, v10, 0
	v_add_co_u32_e64 v23, s[2:3], v40, v4
	v_mov_b32_e32 v12, v6
	v_mov_b32_e32 v1, v8
	v_addc_co_u32_e64 v24, s[2:3], v41, v5, s[2:3]
	v_lshlrev_b64 v[4:5], 2, v[11:12]
	v_mad_u64_u32 v[10:11], s[2:3], s13, v10, v[1:2]
	v_or_b32_e32 v6, 0xa0, v0
	v_mad_u64_u32 v[11:12], s[2:3], s12, v6, 0
	v_add_co_u32_e64 v25, s[2:3], v40, v4
	v_mov_b32_e32 v8, v10
	v_mov_b32_e32 v1, v12
	v_addc_co_u32_e64 v26, s[2:3], v41, v5, s[2:3]
	v_lshlrev_b64 v[4:5], 2, v[7:8]
	v_mad_u64_u32 v[6:7], s[2:3], s13, v6, v[1:2]
	v_add_u32_e32 v10, 0xb4, v0
	v_mad_u64_u32 v[7:8], s[2:3], s12, v10, 0
	v_add_co_u32_e64 v27, s[2:3], v40, v4
	v_mov_b32_e32 v12, v6
	v_mov_b32_e32 v1, v8
	v_addc_co_u32_e64 v28, s[2:3], v41, v5, s[2:3]
	v_lshlrev_b64 v[4:5], 2, v[11:12]
	v_mad_u64_u32 v[10:11], s[2:3], s13, v10, v[1:2]
	v_add_u32_e32 v6, 0xc8, v0
	v_mad_u64_u32 v[11:12], s[2:3], s12, v6, 0
	v_add_co_u32_e64 v29, s[2:3], v40, v4
	v_mov_b32_e32 v8, v10
	v_mov_b32_e32 v1, v12
	v_addc_co_u32_e64 v30, s[2:3], v41, v5, s[2:3]
	v_lshlrev_b64 v[4:5], 2, v[7:8]
	v_mad_u64_u32 v[6:7], s[2:3], s13, v6, v[1:2]
	v_add_co_u32_e64 v31, s[2:3], v40, v4
	v_mov_b32_e32 v12, v6
	v_add_u32_e32 v6, 0xdc, v0
	v_addc_co_u32_e64 v32, s[2:3], v41, v5, s[2:3]
	v_mad_u64_u32 v[33:34], s[2:3], s12, v6, 0
	v_lshlrev_b64 v[4:5], 2, v[11:12]
	v_add_u32_e32 v42, 0xf0, v0
	v_add_co_u32_e64 v35, s[2:3], v40, v4
	v_mov_b32_e32 v1, v34
	v_addc_co_u32_e64 v36, s[2:3], v41, v5, s[2:3]
	v_mad_u64_u32 v[37:38], s[2:3], s13, v6, v[1:2]
	v_mad_u64_u32 v[38:39], s[2:3], s12, v42, 0
	global_load_dword v4, v[13:14], off
	global_load_dword v5, v[15:16], off
	;; [unrolled: 1-line block ×8, first 2 shown]
	v_mov_b32_e32 v34, v37
	v_mov_b32_e32 v1, v39
	v_mad_u64_u32 v[15:16], s[2:3], s13, v42, v[1:2]
	v_lshlrev_b64 v[13:14], 2, v[33:34]
	v_add_co_u32_e64 v18, s[2:3], v40, v13
	v_mov_b32_e32 v39, v15
	v_addc_co_u32_e64 v19, s[2:3], v41, v14, s[2:3]
	v_lshlrev_b64 v[13:14], 2, v[38:39]
	v_add_co_u32_e64 v20, s[2:3], v40, v13
	v_addc_co_u32_e64 v21, s[2:3], v41, v14, s[2:3]
	global_load_dword v13, v[29:30], off
	global_load_dword v14, v[31:32], off
	global_load_dword v17, v[35:36], off
	global_load_dword v16, v[18:19], off
	global_load_dword v15, v[20:21], off
	s_waitcnt vmcnt(12)
	v_lshrrev_b32_e32 v18, 16, v4
	s_waitcnt vmcnt(11)
	v_lshrrev_b32_e32 v19, 16, v5
	;; [unrolled: 2-line block ×13, first 2 shown]
.LBB0_11:
	s_or_b64 exec, exec, s[4:5]
	v_and_b32_e32 v1, 1, v9
	v_mov_b32_e32 v9, 0x104
	v_cmp_eq_u32_e64 s[2:3], 1, v1
	v_cndmask_b32_e64 v1, 0, v9, s[2:3]
	v_lshlrev_b32_e32 v1, 2, v1
	s_and_saveexec_b64 s[2:3], s[0:1]
	s_cbranch_execz .LBB0_13
; %bb.12:
	v_sub_f16_e32 v31, v5, v15
	v_add_f16_e32 v9, v19, v28
	v_mul_f16_e32 v32, 0xbb7b, v31
	s_mov_b32 s0, 0xb5ac
	v_sub_f16_e32 v35, v6, v16
	v_fma_f16 v33, v9, s0, -v32
	s_mov_b32 s1, 0xb9fd
	v_add_f16_e32 v34, v20, v29
	v_mul_f16_e32 v36, 0x394e, v35
	v_add_f16_e32 v33, v18, v33
	v_fma_f16 v37, v34, s1, -v36
	v_sub_f16_e32 v38, v7, v17
	v_add_f16_e32 v33, v33, v37
	s_movk_i32 s4, 0x3b15
	v_add_f16_e32 v37, v21, v30
	v_mul_f16_e32 v39, 0x3770, v38
	v_fma_f16 v40, v37, s4, -v39
	v_sub_f16_e32 v41, v8, v14
	v_add_f16_e32 v33, v33, v40
	s_movk_i32 s5, 0x2fb7
	v_add_f16_e32 v40, v22, v27
	v_mul_f16_e32 v42, 0xbbf1, v41
	v_fma_f16 v43, v40, s5, -v42
	v_sub_f16_e32 v44, v10, v13
	v_add_f16_e32 v33, v43, v33
	s_mov_b32 s6, 0xbbc4
	v_add_f16_e32 v43, v23, v26
	v_mul_f16_e32 v45, 0x33a8, v44
	v_fma_f16 v46, v43, s6, -v45
	v_sub_f16_e32 v47, v11, v12
	v_add_f16_e32 v33, v46, v33
	s_movk_i32 s7, 0x388b
	v_add_f16_e32 v46, v24, v25
	v_mul_f16_e32 v48, 0x3a95, v47
	v_fma_f16 v49, v46, s7, -v48
	v_sub_f16_e32 v50, v19, v28
	v_add_f16_e32 v33, v49, v33
	v_add_f16_e32 v49, v5, v15
	v_mul_f16_e32 v51, 0xbb7b, v50
	v_sub_f16_e32 v54, v20, v29
	v_fma_f16 v52, v49, s0, v51
	v_add_f16_e32 v53, v6, v16
	v_mul_f16_e32 v55, 0x394e, v54
	v_add_f16_e32 v52, v4, v52
	v_fma_f16 v56, v53, s1, v55
	v_sub_f16_e32 v57, v21, v30
	v_add_f16_e32 v52, v52, v56
	v_add_f16_e32 v56, v7, v17
	v_mul_f16_e32 v58, 0x3770, v57
	v_fma_f16 v59, v56, s4, v58
	v_sub_f16_e32 v60, v22, v27
	v_add_f16_e32 v52, v52, v59
	v_add_f16_e32 v59, v8, v14
	v_mul_f16_e32 v61, 0xbbf1, v60
	;; [unrolled: 5-line block ×4, first 2 shown]
	v_fma_f16 v68, v65, s7, v67
	v_add_f16_e32 v52, v68, v52
	v_mul_f16_e32 v68, 0xb94e, v31
	v_fma_f16 v69, v9, s1, -v68
	v_mul_f16_e32 v70, 0x3bf1, v35
	v_add_f16_e32 v69, v18, v69
	v_fma_f16 v71, v34, s5, -v70
	v_fma_f16 v32, v9, s0, v32
	v_add_f16_e32 v69, v69, v71
	v_mul_f16_e32 v71, 0xba95, v38
	v_add_f16_e32 v32, v18, v32
	v_fma_f16 v36, v34, s1, v36
	v_fma_f16 v72, v37, s7, -v71
	v_add_f16_e32 v32, v32, v36
	v_fma_f16 v36, v37, s4, v39
	v_add_f16_e32 v69, v69, v72
	v_mul_f16_e32 v72, 0x33a8, v41
	v_add_f16_e32 v32, v32, v36
	v_fma_f16 v36, v40, s5, v42
	v_fma_f16 v73, v40, s6, -v72
	v_add_f16_e32 v32, v36, v32
	;; [unrolled: 7-line block ×3, first 2 shown]
	v_fma_f16 v36, v49, s0, -v51
	v_add_f16_e32 v69, v74, v69
	v_mul_f16_e32 v74, 0xbb7b, v47
	v_add_f16_e32 v36, v4, v36
	v_fma_f16 v39, v53, s1, -v55
	v_fma_f16 v75, v46, s0, -v74
	v_add_f16_e32 v36, v36, v39
	v_fma_f16 v39, v56, s4, -v58
	v_add_f16_e32 v69, v75, v69
	v_mul_f16_e32 v75, 0xb94e, v50
	v_add_f16_e32 v36, v36, v39
	v_fma_f16 v39, v59, s5, -v61
	v_fma_f16 v76, v49, s1, v75
	v_mul_f16_e32 v77, 0x3bf1, v54
	v_add_f16_e32 v36, v39, v36
	v_fma_f16 v39, v62, s6, -v64
	v_add_f16_e32 v76, v4, v76
	v_fma_f16 v78, v53, s5, v77
	v_add_f16_e32 v36, v39, v36
	v_fma_f16 v39, v65, s7, -v67
	v_add_f16_e32 v76, v76, v78
	v_mul_f16_e32 v78, 0xba95, v57
	v_add_f16_e32 v36, v39, v36
	v_mul_f16_e32 v39, 0xbbf1, v31
	v_fma_f16 v79, v56, s7, v78
	v_fma_f16 v68, v9, s1, v68
	;; [unrolled: 1-line block ×3, first 2 shown]
	v_mul_f16_e32 v45, 0xb3a8, v35
	v_add_f16_e32 v76, v76, v79
	v_mul_f16_e32 v79, 0x33a8, v60
	v_add_f16_e32 v68, v18, v68
	v_fma_f16 v70, v34, s5, v70
	v_add_f16_e32 v42, v18, v42
	v_fma_f16 v48, v34, s6, v45
	v_fma_f16 v80, v59, s6, v79
	v_add_f16_e32 v68, v68, v70
	v_fma_f16 v70, v37, s7, v71
	v_add_f16_e32 v42, v42, v48
	v_mul_f16_e32 v48, 0x3b7b, v38
	v_add_f16_e32 v76, v80, v76
	v_mul_f16_e32 v80, 0x3770, v63
	v_add_f16_e32 v68, v68, v70
	v_fma_f16 v70, v40, s6, v72
	v_fma_f16 v51, v37, s0, v48
	;; [unrolled: 1-line block ×3, first 2 shown]
	v_add_f16_e32 v68, v70, v68
	v_fma_f16 v70, v43, s4, v73
	v_add_f16_e32 v42, v42, v51
	v_mul_f16_e32 v51, 0x3770, v41
	v_add_f16_e32 v76, v81, v76
	v_mul_f16_e32 v81, 0xbb7b, v66
	v_add_f16_e32 v68, v70, v68
	v_fma_f16 v70, v46, s0, v74
	v_fma_f16 v55, v40, s4, v51
	;; [unrolled: 1-line block ×3, first 2 shown]
	v_add_f16_e32 v68, v70, v68
	v_fma_f16 v70, v49, s1, -v75
	v_add_f16_e32 v42, v55, v42
	v_mul_f16_e32 v55, 0xba95, v44
	v_add_f16_e32 v76, v82, v76
	v_mul_f16_e32 v82, 0xb3a8, v31
	v_add_f16_e32 v70, v4, v70
	v_fma_f16 v71, v53, s5, -v77
	v_fma_f16 v58, v43, s7, v55
	v_fma_f16 v83, v9, s6, -v82
	v_mul_f16_e32 v84, 0x3770, v35
	v_add_f16_e32 v70, v70, v71
	v_fma_f16 v71, v56, s7, -v78
	v_add_f16_e32 v42, v58, v42
	v_mul_f16_e32 v58, 0xb94e, v47
	v_add_f16_e32 v83, v18, v83
	v_fma_f16 v85, v34, s4, -v84
	v_add_f16_e32 v70, v70, v71
	v_fma_f16 v71, v59, s6, -v79
	v_fma_f16 v61, v46, s1, v58
	v_add_f16_e32 v83, v83, v85
	v_mul_f16_e32 v85, 0xb94e, v38
	v_add_f16_e32 v70, v71, v70
	v_fma_f16 v71, v62, s4, -v80
	v_add_f16_e32 v42, v61, v42
	s_movk_i32 s11, 0x3bf1
	v_mul_f16_e32 v61, 0x2fb7, v49
	v_fma_f16 v86, v37, s1, -v85
	v_add_f16_e32 v70, v71, v70
	v_fma_f16 v71, v65, s0, -v81
	s_movk_i32 s10, 0x33a8
	v_fma_f16 v64, v50, s11, v61
	v_mul_f16_e32 v67, 0xbbc4, v53
	v_add_f16_e32 v83, v83, v86
	v_mul_f16_e32 v86, 0x3a95, v41
	v_add_f16_e32 v70, v71, v70
	v_add_f16_e32 v64, v4, v64
	v_fma_f16 v71, v54, s10, v67
	v_fma_f16 v87, v40, s7, -v86
	v_add_f16_e32 v64, v64, v71
	s_mov_b32 s16, 0xbb7b
	v_mul_f16_e32 v71, 0xb5ac, v56
	v_add_f16_e32 v83, v87, v83
	v_mul_f16_e32 v87, 0xbb7b, v44
	v_fma_f16 v72, v57, s16, v71
	v_fma_f16 v88, v43, s0, -v87
	v_add_f16_e32 v64, v64, v72
	s_mov_b32 s17, 0xb770
	v_mul_f16_e32 v72, 0x3b15, v59
	v_add_f16_e32 v83, v88, v83
	v_mul_f16_e32 v88, 0x3bf1, v47
	v_fma_f16 v73, v60, s17, v72
	v_fma_f16 v89, v46, s5, -v88
	v_fma_f16 v82, v9, s6, v82
	v_add_f16_e32 v64, v73, v64
	s_movk_i32 s18, 0x3a95
	v_mul_f16_e32 v73, 0x388b, v62
	v_add_f16_e32 v83, v89, v83
	v_mul_f16_e32 v89, 0xb3a8, v50
	v_add_f16_e32 v82, v18, v82
	v_fma_f16 v84, v34, s4, v84
	v_fma_f16 v74, v63, s18, v73
	;; [unrolled: 1-line block ×3, first 2 shown]
	v_mul_f16_e32 v91, 0x3770, v54
	v_add_f16_e32 v82, v82, v84
	v_fma_f16 v84, v37, s1, v85
	v_add_f16_e32 v64, v74, v64
	s_movk_i32 s19, 0x394e
	v_mul_f16_e32 v74, 0xb9fd, v65
	v_add_f16_e32 v90, v4, v90
	v_fma_f16 v92, v53, s4, v91
	v_add_f16_e32 v82, v82, v84
	v_fma_f16 v84, v40, s7, v86
	v_fma_f16 v75, v66, s19, v74
	v_add_f16_e32 v90, v90, v92
	v_mul_f16_e32 v92, 0xb94e, v57
	v_add_f16_e32 v82, v84, v82
	v_fma_f16 v84, v43, s0, v87
	v_add_f16_e32 v64, v75, v64
	v_mul_f16_e32 v75, 0xba95, v31
	v_fma_f16 v93, v56, s1, v92
	v_add_f16_e32 v82, v84, v82
	v_fma_f16 v84, v46, s5, v88
	v_fma_f16 v77, v9, s7, v75
	v_mul_f16_e32 v78, 0xbb7b, v35
	v_add_f16_e32 v90, v90, v93
	v_mul_f16_e32 v93, 0x3a95, v60
	v_add_f16_e32 v82, v84, v82
	v_fma_f16 v84, v49, s6, -v89
	v_add_f16_e32 v77, v18, v77
	v_fma_f16 v79, v34, s0, v78
	v_fma_f16 v94, v59, s7, v93
	v_add_f16_e32 v84, v4, v84
	v_fma_f16 v85, v53, s4, -v91
	v_add_f16_e32 v77, v77, v79
	v_mul_f16_e32 v79, 0xb3a8, v38
	v_add_f16_e32 v90, v94, v90
	v_mul_f16_e32 v94, 0xbb7b, v63
	v_add_f16_e32 v84, v84, v85
	v_fma_f16 v85, v56, s1, -v92
	v_fma_f16 v80, v37, s6, v79
	v_fma_f16 v95, v62, s0, v94
	v_add_f16_e32 v84, v84, v85
	v_fma_f16 v85, v59, s7, -v93
	v_add_f16_e32 v77, v77, v80
	v_mul_f16_e32 v80, 0x394e, v41
	v_add_f16_e32 v90, v95, v90
	v_mul_f16_e32 v95, 0x3bf1, v66
	v_add_f16_e32 v84, v85, v84
	v_fma_f16 v85, v62, s0, -v94
	v_fma_f16 v81, v40, s1, v80
	v_add_f16_e32 v84, v85, v84
	v_fma_f16 v85, v65, s5, -v95
	v_add_f16_e32 v77, v81, v77
	v_mul_f16_e32 v81, 0x3bf1, v44
	v_add_f16_e32 v84, v85, v84
	v_fma_f16 v85, v43, s5, v81
	v_add_f16_e32 v77, v85, v77
	v_mul_f16_e32 v85, 0x3770, v47
	v_fma_f16 v86, v46, s4, v85
	v_add_f16_e32 v77, v86, v77
	v_mul_f16_e32 v86, 0x388b, v49
	s_movk_i32 s20, 0x3b7b
	v_fma_f16 v87, v50, s18, v86
	v_mul_f16_e32 v88, 0xb5ac, v53
	v_add_f16_e32 v87, v4, v87
	v_fma_f16 v89, v54, s20, v88
	v_add_f16_e32 v87, v87, v89
	v_mul_f16_e32 v89, 0xbbc4, v56
	v_fma_f16 v91, v57, s10, v89
	v_add_f16_e32 v87, v87, v91
	s_mov_b32 s21, 0xb94e
	v_mul_f16_e32 v91, 0xb9fd, v59
	v_fma_f16 v92, v60, s21, v91
	v_add_f16_e32 v87, v92, v87
	s_mov_b32 s22, 0xbbf1
	v_mul_f16_e32 v92, 0x2fb7, v62
	v_fma_f16 v93, v63, s22, v92
	v_add_f16_e32 v87, v93, v87
	v_mul_f16_e32 v93, 0x3b15, v65
	v_fma_f16 v94, v66, s17, v93
	v_mul_f16_e32 v31, 0xb770, v31
	v_add_f16_e32 v87, v94, v87
	v_fma_f16 v94, v9, s4, v31
	v_mul_f16_e32 v35, 0xba95, v35
	v_fma_f16 v96, v65, s5, v95
	v_add_f16_e32 v94, v18, v94
	v_fma_f16 v95, v34, s7, v35
	v_mul_f16_e32 v38, 0xbbf1, v38
	v_add_f16_e32 v94, v94, v95
	v_fma_f16 v95, v37, s5, v38
	v_mul_f16_e32 v41, 0xbb7b, v41
	;; [unrolled: 3-line block ×4, first 2 shown]
	v_add_f16_e32 v94, v95, v94
	v_fma_f16 v95, v46, s6, v47
	s_movk_i32 s23, 0x3770
	v_mul_f16_e32 v49, 0x3b15, v49
	v_fma_f16 v39, v9, s5, -v39
	v_add_f16_e32 v94, v95, v94
	v_fma_f16 v95, v50, s23, v49
	v_mul_f16_e32 v53, 0x388b, v53
	v_add_f16_e32 v39, v18, v39
	v_fma_f16 v45, v34, s6, -v45
	v_add_f16_e32 v90, v96, v90
	v_add_f16_e32 v95, v4, v95
	v_fma_f16 v96, v54, s18, v53
	v_mul_f16_e32 v56, 0x2fb7, v56
	v_add_f16_e32 v39, v39, v45
	v_fma_f16 v45, v37, s0, -v48
	v_add_f16_e32 v95, v95, v96
	v_fma_f16 v96, v57, s11, v56
	v_mul_f16_e32 v59, 0xb5ac, v59
	v_add_f16_e32 v39, v39, v45
	v_fma_f16 v45, v40, s4, -v51
	v_add_f16_e32 v95, v95, v96
	v_fma_f16 v96, v60, s20, v59
	v_mul_f16_e32 v62, 0xb9fd, v62
	v_add_f16_e32 v39, v45, v39
	v_fma_f16 v45, v43, s7, -v55
	v_add_f16_e32 v95, v96, v95
	v_fma_f16 v96, v63, s19, v62
	v_mul_f16_e32 v65, 0xbbc4, v65
	v_add_f16_e32 v39, v45, v39
	v_fma_f16 v45, v46, s1, -v58
	v_add_f16_e32 v95, v96, v95
	v_fma_f16 v96, v66, s10, v65
	v_add_f16_e32 v39, v45, v39
	s_mov_b32 s10, 0xb3a8
	v_fma_f16 v45, v50, s22, v61
	v_add_f16_e32 v45, v4, v45
	v_fma_f16 v48, v54, s10, v67
	v_add_f16_e32 v45, v45, v48
	;; [unrolled: 2-line block ×3, first 2 shown]
	v_fma_f16 v48, v60, s23, v72
	s_mov_b32 s18, 0xba95
	v_add_f16_e32 v45, v48, v45
	v_fma_f16 v48, v63, s18, v73
	v_add_f16_e32 v45, v48, v45
	v_fma_f16 v48, v66, s21, v74
	v_add_f16_e32 v45, v48, v45
	v_fma_f16 v48, v9, s7, -v75
	v_fma_f16 v9, v9, s4, -v31
	v_add_f16_e32 v48, v18, v48
	v_fma_f16 v51, v34, s0, -v78
	v_fma_f16 v31, v34, s7, -v35
	v_add_f16_e32 v9, v18, v9
	v_add_f16_e32 v48, v48, v51
	v_fma_f16 v51, v37, s6, -v79
	v_add_f16_e32 v9, v9, v31
	v_fma_f16 v31, v37, s5, -v38
	;; [unrolled: 2-line block ×8, first 2 shown]
	v_add_f16_e32 v48, v51, v48
	v_fma_f16 v51, v50, s18, v86
	v_add_f16_e32 v9, v31, v9
	v_fma_f16 v31, v50, s17, v49
	v_add_f16_e32 v51, v4, v51
	v_add_f16_e32 v31, v4, v31
	;; [unrolled: 1-line block ×24, first 2 shown]
	v_add_f16_sdwa v18, v28, v18 dst_sel:WORD_1 dst_unused:UNUSED_PAD src0_sel:DWORD src1_sel:DWORD
	v_add_f16_e32 v4, v15, v4
	v_mul_u32_u24_e32 v5, 52, v0
	v_add_f16_e32 v95, v96, v95
	v_fma_f16 v55, v54, s16, v88
	v_fma_f16 v34, v54, s18, v53
	v_or_b32_e32 v4, v18, v4
	v_add3_u32 v5, 0, v5, v1
	v_add_f16_e32 v51, v51, v55
	v_fma_f16 v55, v57, s10, v89
	v_add_f16_e32 v31, v31, v34
	v_fma_f16 v34, v57, s22, v56
	ds_write_b32 v5, v4
	v_pack_b32_f16 v4, v87, v77
	v_pack_b32_f16 v6, v95, v94
	v_add_f16_e32 v51, v51, v55
	v_fma_f16 v55, v60, s19, v91
	v_add_f16_e32 v31, v31, v34
	v_fma_f16 v34, v60, s16, v59
	ds_write2_b32 v5, v6, v4 offset0:1 offset1:2
	v_pack_b32_f16 v4, v36, v32
	v_pack_b32_f16 v6, v64, v42
	v_add_f16_e32 v51, v55, v51
	v_fma_f16 v55, v63, s11, v92
	v_add_f16_e32 v31, v34, v31
	v_fma_f16 v34, v63, s21, v62
	ds_write2_b32 v5, v6, v4 offset0:3 offset1:4
	;; [unrolled: 7-line block ×3, first 2 shown]
	v_pack_b32_f16 v4, v76, v69
	v_pack_b32_f16 v6, v90, v83
	v_add_f16_e32 v51, v55, v51
	v_add_f16_e32 v31, v34, v31
	ds_write2_b32 v5, v6, v4 offset0:7 offset1:8
	v_pack_b32_f16 v4, v45, v39
	v_pack_b32_f16 v6, v52, v33
	ds_write2_b32 v5, v6, v4 offset0:9 offset1:10
	v_pack_b32_f16 v4, v31, v9
	v_pack_b32_f16 v6, v51, v48
	ds_write2_b32 v5, v6, v4 offset0:11 offset1:12
.LBB0_13:
	s_or_b64 exec, exec, s[2:3]
	v_add_u32_e32 v4, -13, v0
	v_cmp_gt_u32_e64 s[0:1], 13, v0
	v_cndmask_b32_e64 v23, v4, v0, s[0:1]
	v_mul_i32_i24_e32 v4, 9, v23
	v_mov_b32_e32 v5, 0
	v_lshlrev_b64 v[6:7], 2, v[4:5]
	v_mov_b32_e32 v4, s9
	v_add_co_u32_e64 v15, s[0:1], s8, v6
	v_addc_co_u32_e64 v16, s[0:1], v4, v7, s[0:1]
	s_waitcnt lgkmcnt(0)
	; wave barrier
	s_waitcnt lgkmcnt(0)
	global_load_dwordx4 v[7:10], v[15:16], off
	global_load_dwordx4 v[11:14], v[15:16], off offset:16
	global_load_dword v24, v[15:16], off offset:32
	v_lshlrev_b32_e32 v6, 2, v0
	v_add3_u32 v4, 0, v1, v6
	v_add3_u32 v6, 0, v6, v1
	ds_read2_b32 v[15:16], v6 offset0:26 offset1:52
	ds_read_b32 v25, v4
	ds_read2_b32 v[17:18], v6 offset0:130 offset1:156
	ds_read2_b32 v[19:20], v6 offset0:182 offset1:208
	;; [unrolled: 1-line block ×3, first 2 shown]
	ds_read_b32 v26, v6 offset:936
	s_waitcnt lgkmcnt(5)
	v_lshrrev_b32_e32 v33, 16, v16
	s_waitcnt lgkmcnt(3)
	v_lshrrev_b32_e32 v28, 16, v18
	;; [unrolled: 2-line block ×4, first 2 shown]
	v_lshrrev_b32_e32 v30, 16, v20
	v_lshrrev_b32_e32 v32, 16, v15
	s_waitcnt lgkmcnt(0)
	v_lshrrev_b32_e32 v31, 16, v26
	s_movk_i32 s0, 0x3b9c
	s_mov_b32 s3, 0xbb9c
	s_movk_i32 s1, 0x38b4
	s_mov_b32 s4, 0xb8b4
	s_movk_i32 s2, 0x34f2
	v_lshrrev_b32_e32 v34, 16, v21
	v_lshrrev_b32_e32 v27, 16, v25
	;; [unrolled: 1-line block ×3, first 2 shown]
	s_movk_i32 s5, 0x3a79
	s_waitcnt lgkmcnt(0)
	; wave barrier
	s_waitcnt vmcnt(2)
	v_mul_f16_sdwa v43, v10, v35 dst_sel:DWORD dst_unused:UNUSED_PAD src0_sel:WORD_1 src1_sel:DWORD
	s_waitcnt vmcnt(1)
	v_mul_f16_sdwa v47, v28, v12 dst_sel:DWORD dst_unused:UNUSED_PAD src0_sel:DWORD src1_sel:WORD_1
	v_mul_f16_sdwa v39, v8, v33 dst_sel:DWORD dst_unused:UNUSED_PAD src0_sel:WORD_1 src1_sel:DWORD
	v_mul_f16_sdwa v40, v8, v16 dst_sel:DWORD dst_unused:UNUSED_PAD src0_sel:WORD_1 src1_sel:DWORD
	;; [unrolled: 1-line block ×3, first 2 shown]
	v_mul_f16_sdwa v48, v18, v12 dst_sel:DWORD dst_unused:UNUSED_PAD src0_sel:DWORD src1_sel:WORD_1
	v_mul_f16_sdwa v49, v29, v13 dst_sel:DWORD dst_unused:UNUSED_PAD src0_sel:DWORD src1_sel:WORD_1
	;; [unrolled: 1-line block ×5, first 2 shown]
	v_fma_f16 v22, v10, v22, -v43
	v_fma_f16 v18, v18, v12, -v47
	v_mul_f16_sdwa v37, v7, v32 dst_sel:DWORD dst_unused:UNUSED_PAD src0_sel:WORD_1 src1_sel:DWORD
	v_mul_f16_sdwa v38, v7, v15 dst_sel:DWORD dst_unused:UNUSED_PAD src0_sel:WORD_1 src1_sel:DWORD
	v_fma_f16 v16, v8, v16, -v39
	v_fma_f16 v8, v8, v33, v40
	v_fma_f16 v19, v19, v13, -v49
	v_fma_f16 v13, v29, v13, v50
	;; [unrolled: 2-line block ×3, first 2 shown]
	v_add_f16_e32 v29, v22, v18
	s_waitcnt vmcnt(0)
	v_mul_f16_sdwa v53, v31, v24 dst_sel:DWORD dst_unused:UNUSED_PAD src0_sel:DWORD src1_sel:WORD_1
	v_mul_f16_sdwa v54, v26, v24 dst_sel:DWORD dst_unused:UNUSED_PAD src0_sel:DWORD src1_sel:WORD_1
	v_fma_f16 v15, v7, v15, -v37
	v_fma_f16 v7, v7, v32, v38
	v_fma_f16 v10, v10, v35, v44
	;; [unrolled: 1-line block ×3, first 2 shown]
	v_sub_f16_e32 v30, v8, v14
	v_sub_f16_e32 v32, v16, v22
	;; [unrolled: 1-line block ×3, first 2 shown]
	v_fma_f16 v29, v29, -0.5, v25
	v_fma_f16 v26, v26, v24, -v53
	v_fma_f16 v24, v31, v24, v54
	v_sub_f16_e32 v31, v10, v12
	v_add_f16_e32 v32, v32, v33
	v_fma_f16 v33, v30, s0, v29
	v_fma_f16 v29, v30, s3, v29
	;; [unrolled: 1-line block ×6, first 2 shown]
	v_add_f16_e32 v32, v16, v20
	v_mul_f16_sdwa v41, v9, v34 dst_sel:DWORD dst_unused:UNUSED_PAD src0_sel:WORD_1 src1_sel:DWORD
	v_mul_f16_sdwa v42, v9, v21 dst_sel:DWORD dst_unused:UNUSED_PAD src0_sel:WORD_1 src1_sel:DWORD
	v_add_f16_e32 v28, v25, v16
	v_fma_f16 v25, v32, -0.5, v25
	v_fma_f16 v21, v9, v21, -v41
	v_fma_f16 v9, v9, v34, v42
	v_add_f16_e32 v28, v28, v22
	v_fma_f16 v32, v31, s3, v25
	v_sub_f16_e32 v34, v22, v16
	v_sub_f16_e32 v35, v18, v20
	v_fma_f16 v25, v31, s0, v25
	v_add_f16_e32 v31, v10, v12
	v_add_f16_e32 v28, v28, v18
	v_fma_f16 v32, v30, s1, v32
	v_add_f16_e32 v34, v34, v35
	v_fma_f16 v25, v30, s4, v25
	v_fma_f16 v31, v31, -0.5, v27
	v_sub_f16_e32 v16, v16, v20
	v_add_f16_e32 v28, v28, v20
	v_fma_f16 v32, v34, s2, v32
	v_fma_f16 v25, v34, s2, v25
	;; [unrolled: 1-line block ×3, first 2 shown]
	v_sub_f16_e32 v18, v22, v18
	v_sub_f16_e32 v22, v8, v10
	;; [unrolled: 1-line block ×3, first 2 shown]
	v_fma_f16 v31, v16, s0, v31
	v_add_f16_e32 v30, v27, v8
	v_fma_f16 v20, v18, s4, v20
	v_add_f16_e32 v22, v22, v34
	v_fma_f16 v31, v18, s1, v31
	v_mul_f16_sdwa v45, v11, v36 dst_sel:DWORD dst_unused:UNUSED_PAD src0_sel:WORD_1 src1_sel:DWORD
	v_add_f16_e32 v30, v30, v10
	v_fma_f16 v20, v22, s2, v20
	v_fma_f16 v22, v22, s2, v31
	v_add_f16_e32 v31, v8, v14
	v_mul_f16_sdwa v46, v11, v17 dst_sel:DWORD dst_unused:UNUSED_PAD src0_sel:WORD_1 src1_sel:DWORD
	v_fma_f16 v17, v11, v17, -v45
	v_add_f16_e32 v30, v30, v12
	v_fma_f16 v27, v31, -0.5, v27
	v_add_f16_e32 v30, v30, v14
	v_fma_f16 v31, v18, s0, v27
	v_sub_f16_e32 v8, v10, v8
	v_sub_f16_e32 v10, v12, v14
	v_fma_f16 v12, v18, s3, v27
	v_add_f16_e32 v14, v17, v19
	v_fma_f16 v11, v11, v36, v46
	v_fma_f16 v31, v16, s4, v31
	v_add_f16_e32 v8, v8, v10
	v_fma_f16 v12, v16, s1, v12
	v_fma_f16 v14, v14, -0.5, v15
	v_sub_f16_e32 v16, v9, v24
	v_fma_f16 v10, v8, s2, v31
	v_fma_f16 v18, v16, s0, v14
	v_sub_f16_e32 v27, v11, v13
	v_sub_f16_e32 v31, v21, v17
	;; [unrolled: 1-line block ×3, first 2 shown]
	v_fma_f16 v14, v16, s3, v14
	v_fma_f16 v18, v27, s1, v18
	v_add_f16_e32 v31, v31, v34
	v_fma_f16 v14, v27, s4, v14
	v_fma_f16 v18, v31, s2, v18
	;; [unrolled: 1-line block ×3, first 2 shown]
	v_add_f16_e32 v31, v21, v26
	v_fma_f16 v8, v8, s2, v12
	v_add_f16_e32 v12, v15, v21
	v_fma_f16 v15, v31, -0.5, v15
	v_add_f16_e32 v12, v12, v17
	v_fma_f16 v31, v27, s3, v15
	v_fma_f16 v15, v27, s0, v15
	v_add_f16_e32 v27, v11, v13
	v_add_f16_e32 v12, v12, v19
	v_sub_f16_e32 v34, v17, v21
	v_sub_f16_e32 v35, v19, v26
	v_fma_f16 v27, v27, -0.5, v7
	v_sub_f16_e32 v21, v21, v26
	v_add_f16_e32 v12, v12, v26
	v_fma_f16 v31, v16, s1, v31
	v_add_f16_e32 v34, v34, v35
	v_fma_f16 v15, v16, s4, v15
	v_fma_f16 v26, v21, s3, v27
	v_sub_f16_e32 v17, v17, v19
	v_fma_f16 v31, v34, s2, v31
	v_fma_f16 v15, v34, s2, v15
	;; [unrolled: 1-line block ×3, first 2 shown]
	v_sub_f16_e32 v26, v9, v11
	v_sub_f16_e32 v34, v24, v13
	v_fma_f16 v27, v21, s0, v27
	v_add_f16_e32 v26, v26, v34
	v_fma_f16 v27, v17, s1, v27
	v_fma_f16 v19, v26, s2, v19
	;; [unrolled: 1-line block ×3, first 2 shown]
	v_add_f16_e32 v27, v9, v24
	v_add_f16_e32 v16, v7, v9
	v_fma_f16 v7, v27, -0.5, v7
	v_add_f16_e32 v16, v16, v11
	v_fma_f16 v27, v17, s0, v7
	v_sub_f16_e32 v9, v11, v9
	v_sub_f16_e32 v11, v13, v24
	v_fma_f16 v27, v21, s4, v27
	v_add_f16_e32 v9, v9, v11
	v_fma_f16 v11, v9, s2, v27
	v_fma_f16 v7, v17, s3, v7
	;; [unrolled: 1-line block ×3, first 2 shown]
	v_mul_f16_e32 v21, 0x3b9c, v11
	v_fma_f16 v21, v31, s2, v21
	v_mul_f16_e32 v31, 0xbb9c, v31
	v_add_f16_e32 v16, v16, v13
	v_fma_f16 v7, v9, s2, v7
	v_mul_f16_e32 v13, 0x38b4, v19
	v_mul_f16_e32 v27, 0x34f2, v15
	;; [unrolled: 1-line block ×3, first 2 shown]
	v_fma_f16 v11, v11, s2, v31
	v_fma_f16 v13, v18, s5, v13
	v_fma_f16 v27, v7, s0, -v27
	v_fma_f16 v35, v26, s1, -v35
	v_mul_f16_e32 v18, 0xb8b4, v18
	v_add_f16_e32 v31, v10, v11
	v_mul_f16_e32 v7, 0x34f2, v7
	v_mul_f16_e32 v26, 0x3a79, v26
	v_sub_f16_e32 v10, v10, v11
	v_mov_b32_e32 v11, 0x208
	v_cmp_lt_u32_e64 s[0:1], 12, v0
	v_add_f16_e32 v16, v16, v24
	v_fma_f16 v18, v19, s5, v18
	v_fma_f16 v7, v15, s3, -v7
	v_fma_f16 v14, v14, s4, -v26
	v_cndmask_b32_e64 v11, 0, v11, s[0:1]
	v_add_f16_e32 v9, v28, v12
	v_add_f16_e32 v17, v33, v13
	;; [unrolled: 1-line block ×6, first 2 shown]
	v_sub_f16_e32 v7, v8, v7
	v_sub_f16_e32 v8, v22, v14
	v_add_u32_e32 v11, 0, v11
	v_lshlrev_b32_e32 v14, 2, v23
	v_add_f16_e32 v24, v32, v21
	v_add_f16_e32 v34, v25, v27
	v_add3_u32 v1, v11, v14, v1
	v_pack_b32_f16 v9, v9, v37
	v_pack_b32_f16 v11, v17, v19
	v_add_f16_e32 v36, v29, v35
	v_sub_f16_e32 v12, v28, v12
	v_sub_f16_e32 v16, v30, v16
	ds_write2_b32 v1, v9, v11 offset1:13
	v_pack_b32_f16 v9, v24, v31
	v_pack_b32_f16 v11, v34, v15
	v_sub_f16_e32 v13, v33, v13
	v_sub_f16_e32 v21, v32, v21
	;; [unrolled: 1-line block ×5, first 2 shown]
	ds_write2_b32 v1, v9, v11 offset0:26 offset1:39
	v_pack_b32_f16 v9, v36, v26
	v_pack_b32_f16 v11, v12, v16
	ds_write2_b32 v1, v9, v11 offset0:52 offset1:65
	v_pack_b32_f16 v9, v13, v18
	v_pack_b32_f16 v10, v21, v10
	;; [unrolled: 1-line block ×4, first 2 shown]
	ds_write2_b32 v1, v9, v10 offset0:78 offset1:91
	ds_write2_b32 v1, v7, v8 offset0:104 offset1:117
	s_waitcnt lgkmcnt(0)
	; wave barrier
	s_waitcnt lgkmcnt(0)
	s_and_saveexec_b64 s[0:1], vcc
	s_cbranch_execz .LBB0_15
; %bb.14:
	v_mov_b32_e32 v1, v5
	v_lshlrev_b64 v[7:8], 2, v[0:1]
	v_mov_b32_e32 v1, s9
	v_add_co_u32_e32 v7, vcc, s8, v7
	v_addc_co_u32_e32 v8, vcc, v1, v8, vcc
	global_load_dword v23, v[7:8], off offset:468
	global_load_dword v24, v[7:8], off offset:572
	ds_read2_b32 v[9:10], v6 offset0:78 offset1:104
	ds_read_b32 v25, v6 offset:936
	ds_read2_b32 v[11:12], v6 offset0:182 offset1:208
	ds_read2_b32 v[13:14], v6 offset0:26 offset1:52
	ds_read2_b32 v[15:16], v6 offset0:130 offset1:156
	ds_read_u16 v21, v4
	ds_read_u16 v26, v6 offset:416
	ds_read_u16 v27, v6 offset:312
	;; [unrolled: 1-line block ×4, first 2 shown]
	ds_read_b32 v30, v4
	global_load_dword v35, v[7:8], off offset:676
	global_load_dword v36, v[7:8], off offset:780
	;; [unrolled: 1-line block ×3, first 2 shown]
	v_mad_u64_u32 v[4:5], s[0:1], s12, v0, 0
	v_add_u32_e32 v31, 26, v0
	v_mov_b32_e32 v1, s15
	v_add_u32_e32 v22, 0x82, v0
	v_add_co_u32_e32 v33, vcc, s14, v2
	v_mad_u64_u32 v[17:18], s[2:3], s12, v31, 0
	v_addc_co_u32_e32 v34, vcc, v1, v3, vcc
	v_mad_u64_u32 v[1:2], s[2:3], s12, v22, 0
	v_add_u32_e32 v32, 0x9c, v0
	v_mov_b32_e32 v3, v5
	v_mad_u64_u32 v[19:20], s[2:3], s12, v32, 0
	v_mad_u64_u32 v[5:6], s[2:3], s13, v0, v[3:4]
	v_mov_b32_e32 v3, v18
	v_mad_u64_u32 v[7:8], s[2:3], s13, v22, v[2:3]
	s_mov_b32 s0, 0xffff
	s_waitcnt lgkmcnt(0)
	v_bfi_b32 v38, s0, v21, v30
	v_mov_b32_e32 v6, v20
	v_mad_u64_u32 v[20:21], s[2:3], s13, v31, v[3:4]
	v_mad_u64_u32 v[21:22], s[2:3], s13, v32, v[6:7]
	v_mov_b32_e32 v18, v20
	v_lshlrev_b64 v[3:4], 2, v[4:5]
	v_mov_b32_e32 v20, v21
	v_lshlrev_b64 v[5:6], 2, v[17:18]
	v_mov_b32_e32 v2, v7
	v_lshlrev_b64 v[7:8], 2, v[19:20]
	v_lshlrev_b64 v[1:2], 2, v[1:2]
	v_add_co_u32_e32 v3, vcc, v33, v3
	v_addc_co_u32_e32 v4, vcc, v34, v4, vcc
	v_add_co_u32_e32 v1, vcc, v33, v1
	v_addc_co_u32_e32 v2, vcc, v34, v2, vcc
	;; [unrolled: 2-line block ×4, first 2 shown]
	s_movk_i32 s1, 0x82
	s_waitcnt vmcnt(4)
	v_pk_mul_f16 v17, v23, v15 op_sel:[0,1]
	v_pk_fma_f16 v19, v23, v15, v17 op_sel:[0,0,1] op_sel_hi:[1,1,0] neg_lo:[0,0,1] neg_hi:[0,0,1]
	v_pk_fma_f16 v15, v23, v15, v17 op_sel:[0,0,1] op_sel_hi:[1,0,0]
	s_waitcnt vmcnt(3)
	v_pk_mul_f16 v18, v24, v16 op_sel:[0,1]
	v_bfi_b32 v15, s0, v19, v15
	v_pk_fma_f16 v17, v24, v16, v18 op_sel:[0,0,1] op_sel_hi:[1,1,0] neg_lo:[0,0,1] neg_hi:[0,0,1]
	v_pk_fma_f16 v16, v24, v16, v18 op_sel:[0,0,1] op_sel_hi:[1,0,0]
	v_pk_add_f16 v15, v30, v15 neg_lo:[0,1] neg_hi:[0,1]
	v_bfi_b32 v16, s0, v17, v16
	v_pk_fma_f16 v17, v38, 2.0, v15 op_sel_hi:[1,0,1] neg_lo:[0,0,1] neg_hi:[0,0,1]
	global_store_dword v[3:4], v17, off
	global_store_dword v[1:2], v15, off
	v_add_u32_e32 v3, 52, v0
	v_mad_u64_u32 v[1:2], s[2:3], s12, v3, 0
	v_pk_add_f16 v15, v13, v16 neg_lo:[0,1] neg_hi:[0,1]
	v_bfi_b32 v4, s0, v29, v13
	v_pk_fma_f16 v4, v4, 2.0, v15 op_sel_hi:[1,0,1] neg_lo:[0,0,1] neg_hi:[0,0,1]
	global_store_dword v[5:6], v4, off
	v_mad_u64_u32 v[2:3], s[2:3], s13, v3, v[2:3]
	v_add_u32_e32 v5, 0xb6, v0
	v_mad_u64_u32 v[3:4], s[2:3], s12, v5, 0
	global_store_dword v[7:8], v15, off
	v_add_u32_e32 v7, 0x4e, v0
	v_mad_u64_u32 v[4:5], s[2:3], s13, v5, v[4:5]
	s_waitcnt vmcnt(6)
	v_pk_mul_f16 v5, v35, v11 op_sel:[0,1]
	v_pk_fma_f16 v6, v35, v11, v5 op_sel:[0,0,1] op_sel_hi:[1,1,0] neg_lo:[0,0,1] neg_hi:[0,0,1]
	v_pk_fma_f16 v5, v35, v11, v5 op_sel:[0,0,1] op_sel_hi:[1,0,0]
	v_bfi_b32 v5, s0, v6, v5
	v_lshlrev_b64 v[1:2], 2, v[1:2]
	v_pk_add_f16 v11, v14, v5 neg_lo:[0,1] neg_hi:[0,1]
	v_mad_u64_u32 v[5:6], s[2:3], s12, v7, 0
	v_add_co_u32_e32 v1, vcc, v33, v1
	v_bfi_b32 v8, s0, v28, v14
	v_addc_co_u32_e32 v2, vcc, v34, v2, vcc
	v_pk_fma_f16 v8, v8, 2.0, v11 op_sel_hi:[1,0,1] neg_lo:[0,0,1] neg_hi:[0,0,1]
	global_store_dword v[1:2], v8, off
	v_mov_b32_e32 v1, v6
	v_add_u32_e32 v13, 0xd0, v0
	v_lshlrev_b64 v[3:4], 2, v[3:4]
	v_mad_u64_u32 v[1:2], s[2:3], s13, v7, v[1:2]
	v_mad_u64_u32 v[7:8], s[2:3], s12, v13, 0
	v_add_co_u32_e32 v3, vcc, v33, v3
	v_addc_co_u32_e32 v4, vcc, v34, v4, vcc
	global_store_dword v[3:4], v11, off
	v_mov_b32_e32 v3, v8
	v_mad_u64_u32 v[3:4], s[2:3], s13, v13, v[3:4]
	v_mov_b32_e32 v6, v1
	v_add_u32_e32 v0, 0x68, v0
	s_mov_b32 s2, 0xfc0fc0fd
	v_lshlrev_b64 v[1:2], 2, v[5:6]
	v_mul_hi_u32 v5, v0, s2
	v_add_co_u32_e32 v1, vcc, v33, v1
	v_mov_b32_e32 v8, v3
	s_waitcnt vmcnt(7)
	v_pk_mul_f16 v6, v36, v12 op_sel:[0,1]
	v_lshrrev_b32_e32 v5, 7, v5
	v_lshlrev_b64 v[3:4], 2, v[7:8]
	v_pk_fma_f16 v7, v36, v12, v6 op_sel:[0,0,1] op_sel_hi:[1,1,0] neg_lo:[0,0,1] neg_hi:[0,0,1]
	v_pk_fma_f16 v8, v36, v12, v6 op_sel:[0,0,1] op_sel_hi:[1,0,0]
	v_mad_u64_u32 v[5:6], s[2:3], v5, s1, v[0:1]
	v_bfi_b32 v0, s0, v7, v8
	v_pk_add_f16 v8, v9, v0 neg_lo:[0,1] neg_hi:[0,1]
	v_mad_u64_u32 v[6:7], s[2:3], s12, v5, 0
	v_bfi_b32 v0, s0, v27, v9
	v_addc_co_u32_e32 v2, vcc, v34, v2, vcc
	v_pk_fma_f16 v0, v0, 2.0, v8 op_sel_hi:[1,0,1] neg_lo:[0,0,1] neg_hi:[0,0,1]
	global_store_dword v[1:2], v0, off
	v_mov_b32_e32 v0, v7
	v_mad_u64_u32 v[0:1], s[2:3], s13, v5, v[0:1]
	v_add_u32_e32 v5, 0x82, v5
	v_mad_u64_u32 v[1:2], s[2:3], s12, v5, 0
	v_add_co_u32_e32 v3, vcc, v33, v3
	v_addc_co_u32_e32 v4, vcc, v34, v4, vcc
	v_mov_b32_e32 v7, v0
	v_mov_b32_e32 v0, v2
	global_store_dword v[3:4], v8, off
	v_lshlrev_b64 v[3:4], 2, v[6:7]
	v_mad_u64_u32 v[5:6], s[2:3], s13, v5, v[0:1]
	v_add_co_u32_e32 v3, vcc, v33, v3
	v_mov_b32_e32 v2, v5
	v_lshlrev_b64 v[0:1], 2, v[1:2]
	s_waitcnt vmcnt(8)
	v_pk_mul_f16 v2, v37, v25 op_sel:[0,1]
	v_pk_fma_f16 v5, v37, v25, v2 op_sel:[0,0,1] op_sel_hi:[1,1,0] neg_lo:[0,0,1] neg_hi:[0,0,1]
	v_pk_fma_f16 v2, v37, v25, v2 op_sel:[0,0,1] op_sel_hi:[1,0,0]
	v_bfi_b32 v2, s0, v5, v2
	v_addc_co_u32_e32 v4, vcc, v34, v4, vcc
	v_pk_add_f16 v2, v10, v2 neg_lo:[0,1] neg_hi:[0,1]
	v_bfi_b32 v5, s0, v26, v10
	v_add_co_u32_e32 v0, vcc, v33, v0
	v_pk_fma_f16 v5, v5, 2.0, v2 op_sel_hi:[1,0,1] neg_lo:[0,0,1] neg_hi:[0,0,1]
	v_addc_co_u32_e32 v1, vcc, v34, v1, vcc
	global_store_dword v[3:4], v5, off
	global_store_dword v[0:1], v2, off
.LBB0_15:
	s_endpgm
	.section	.rodata,"a",@progbits
	.p2align	6, 0x0
	.amdhsa_kernel fft_rtc_fwd_len260_factors_13_10_2_wgs_52_tpt_26_half_ip_CI_sbrr_dirReg
		.amdhsa_group_segment_fixed_size 0
		.amdhsa_private_segment_fixed_size 0
		.amdhsa_kernarg_size 88
		.amdhsa_user_sgpr_count 6
		.amdhsa_user_sgpr_private_segment_buffer 1
		.amdhsa_user_sgpr_dispatch_ptr 0
		.amdhsa_user_sgpr_queue_ptr 0
		.amdhsa_user_sgpr_kernarg_segment_ptr 1
		.amdhsa_user_sgpr_dispatch_id 0
		.amdhsa_user_sgpr_flat_scratch_init 0
		.amdhsa_user_sgpr_private_segment_size 0
		.amdhsa_uses_dynamic_stack 0
		.amdhsa_system_sgpr_private_segment_wavefront_offset 0
		.amdhsa_system_sgpr_workgroup_id_x 1
		.amdhsa_system_sgpr_workgroup_id_y 0
		.amdhsa_system_sgpr_workgroup_id_z 0
		.amdhsa_system_sgpr_workgroup_info 0
		.amdhsa_system_vgpr_workitem_id 0
		.amdhsa_next_free_vgpr 97
		.amdhsa_next_free_sgpr 24
		.amdhsa_reserve_vcc 1
		.amdhsa_reserve_flat_scratch 0
		.amdhsa_float_round_mode_32 0
		.amdhsa_float_round_mode_16_64 0
		.amdhsa_float_denorm_mode_32 3
		.amdhsa_float_denorm_mode_16_64 3
		.amdhsa_dx10_clamp 1
		.amdhsa_ieee_mode 1
		.amdhsa_fp16_overflow 0
		.amdhsa_exception_fp_ieee_invalid_op 0
		.amdhsa_exception_fp_denorm_src 0
		.amdhsa_exception_fp_ieee_div_zero 0
		.amdhsa_exception_fp_ieee_overflow 0
		.amdhsa_exception_fp_ieee_underflow 0
		.amdhsa_exception_fp_ieee_inexact 0
		.amdhsa_exception_int_div_zero 0
	.end_amdhsa_kernel
	.text
.Lfunc_end0:
	.size	fft_rtc_fwd_len260_factors_13_10_2_wgs_52_tpt_26_half_ip_CI_sbrr_dirReg, .Lfunc_end0-fft_rtc_fwd_len260_factors_13_10_2_wgs_52_tpt_26_half_ip_CI_sbrr_dirReg
                                        ; -- End function
	.section	.AMDGPU.csdata,"",@progbits
; Kernel info:
; codeLenInByte = 7544
; NumSgprs: 28
; NumVgprs: 97
; ScratchSize: 0
; MemoryBound: 0
; FloatMode: 240
; IeeeMode: 1
; LDSByteSize: 0 bytes/workgroup (compile time only)
; SGPRBlocks: 3
; VGPRBlocks: 24
; NumSGPRsForWavesPerEU: 28
; NumVGPRsForWavesPerEU: 97
; Occupancy: 2
; WaveLimiterHint : 1
; COMPUTE_PGM_RSRC2:SCRATCH_EN: 0
; COMPUTE_PGM_RSRC2:USER_SGPR: 6
; COMPUTE_PGM_RSRC2:TRAP_HANDLER: 0
; COMPUTE_PGM_RSRC2:TGID_X_EN: 1
; COMPUTE_PGM_RSRC2:TGID_Y_EN: 0
; COMPUTE_PGM_RSRC2:TGID_Z_EN: 0
; COMPUTE_PGM_RSRC2:TIDIG_COMP_CNT: 0
	.type	__hip_cuid_3fdfdda971c3cce,@object ; @__hip_cuid_3fdfdda971c3cce
	.section	.bss,"aw",@nobits
	.globl	__hip_cuid_3fdfdda971c3cce
__hip_cuid_3fdfdda971c3cce:
	.byte	0                               ; 0x0
	.size	__hip_cuid_3fdfdda971c3cce, 1

	.ident	"AMD clang version 19.0.0git (https://github.com/RadeonOpenCompute/llvm-project roc-6.4.0 25133 c7fe45cf4b819c5991fe208aaa96edf142730f1d)"
	.section	".note.GNU-stack","",@progbits
	.addrsig
	.addrsig_sym __hip_cuid_3fdfdda971c3cce
	.amdgpu_metadata
---
amdhsa.kernels:
  - .args:
      - .actual_access:  read_only
        .address_space:  global
        .offset:         0
        .size:           8
        .value_kind:     global_buffer
      - .offset:         8
        .size:           8
        .value_kind:     by_value
      - .actual_access:  read_only
        .address_space:  global
        .offset:         16
        .size:           8
        .value_kind:     global_buffer
      - .actual_access:  read_only
        .address_space:  global
        .offset:         24
        .size:           8
        .value_kind:     global_buffer
      - .offset:         32
        .size:           8
        .value_kind:     by_value
      - .actual_access:  read_only
        .address_space:  global
        .offset:         40
        .size:           8
        .value_kind:     global_buffer
      - .actual_access:  read_only
        .address_space:  global
        .offset:         48
        .size:           8
        .value_kind:     global_buffer
      - .offset:         56
        .size:           4
        .value_kind:     by_value
      - .actual_access:  read_only
        .address_space:  global
        .offset:         64
        .size:           8
        .value_kind:     global_buffer
      - .actual_access:  read_only
        .address_space:  global
        .offset:         72
        .size:           8
        .value_kind:     global_buffer
      - .address_space:  global
        .offset:         80
        .size:           8
        .value_kind:     global_buffer
    .group_segment_fixed_size: 0
    .kernarg_segment_align: 8
    .kernarg_segment_size: 88
    .language:       OpenCL C
    .language_version:
      - 2
      - 0
    .max_flat_workgroup_size: 52
    .name:           fft_rtc_fwd_len260_factors_13_10_2_wgs_52_tpt_26_half_ip_CI_sbrr_dirReg
    .private_segment_fixed_size: 0
    .sgpr_count:     28
    .sgpr_spill_count: 0
    .symbol:         fft_rtc_fwd_len260_factors_13_10_2_wgs_52_tpt_26_half_ip_CI_sbrr_dirReg.kd
    .uniform_work_group_size: 1
    .uses_dynamic_stack: false
    .vgpr_count:     97
    .vgpr_spill_count: 0
    .wavefront_size: 64
amdhsa.target:   amdgcn-amd-amdhsa--gfx906
amdhsa.version:
  - 1
  - 2
...

	.end_amdgpu_metadata
